;; amdgpu-corpus repo=ROCm/rocFFT kind=compiled arch=gfx1100 opt=O3
	.text
	.amdgcn_target "amdgcn-amd-amdhsa--gfx1100"
	.amdhsa_code_object_version 6
	.protected	fft_rtc_fwd_len735_factors_7_3_5_7_wgs_147_tpt_147_dp_op_CI_CI_unitstride_sbrr_dirReg ; -- Begin function fft_rtc_fwd_len735_factors_7_3_5_7_wgs_147_tpt_147_dp_op_CI_CI_unitstride_sbrr_dirReg
	.globl	fft_rtc_fwd_len735_factors_7_3_5_7_wgs_147_tpt_147_dp_op_CI_CI_unitstride_sbrr_dirReg
	.p2align	8
	.type	fft_rtc_fwd_len735_factors_7_3_5_7_wgs_147_tpt_147_dp_op_CI_CI_unitstride_sbrr_dirReg,@function
fft_rtc_fwd_len735_factors_7_3_5_7_wgs_147_tpt_147_dp_op_CI_CI_unitstride_sbrr_dirReg: ; @fft_rtc_fwd_len735_factors_7_3_5_7_wgs_147_tpt_147_dp_op_CI_CI_unitstride_sbrr_dirReg
; %bb.0:
	s_clause 0x2
	s_load_b128 s[8:11], s[0:1], 0x0
	s_load_b128 s[4:7], s[0:1], 0x58
	;; [unrolled: 1-line block ×3, first 2 shown]
	v_mul_u32_u24_e32 v1, 0x1be, v0
	v_mov_b32_e32 v4, 0
	v_mov_b32_e32 v5, 0
	s_delay_alu instid0(VALU_DEP_3) | instskip(NEXT) | instid1(VALU_DEP_1)
	v_lshrrev_b32_e32 v2, 16, v1
	v_dual_mov_b32 v1, 0 :: v_dual_add_nc_u32 v6, s15, v2
	s_delay_alu instid0(VALU_DEP_1) | instskip(SKIP_2) | instid1(VALU_DEP_1)
	v_mov_b32_e32 v7, v1
	s_waitcnt lgkmcnt(0)
	v_cmp_lt_u64_e64 s2, s[10:11], 2
	s_and_b32 vcc_lo, exec_lo, s2
	s_cbranch_vccnz .LBB0_8
; %bb.1:
	s_load_b64 s[2:3], s[0:1], 0x10
	v_mov_b32_e32 v4, 0
	v_mov_b32_e32 v5, 0
	s_add_u32 s12, s18, 8
	s_addc_u32 s13, s19, 0
	s_add_u32 s14, s16, 8
	s_addc_u32 s15, s17, 0
	v_dual_mov_b32 v29, v5 :: v_dual_mov_b32 v28, v4
	s_mov_b64 s[22:23], 1
	s_waitcnt lgkmcnt(0)
	s_add_u32 s20, s2, 8
	s_addc_u32 s21, s3, 0
.LBB0_2:                                ; =>This Inner Loop Header: Depth=1
	s_load_b64 s[24:25], s[20:21], 0x0
                                        ; implicit-def: $vgpr30_vgpr31
	s_mov_b32 s2, exec_lo
	s_waitcnt lgkmcnt(0)
	v_or_b32_e32 v2, s25, v7
	s_delay_alu instid0(VALU_DEP_1)
	v_cmpx_ne_u64_e32 0, v[1:2]
	s_xor_b32 s3, exec_lo, s2
	s_cbranch_execz .LBB0_4
; %bb.3:                                ;   in Loop: Header=BB0_2 Depth=1
	v_cvt_f32_u32_e32 v2, s24
	v_cvt_f32_u32_e32 v3, s25
	s_sub_u32 s2, 0, s24
	s_subb_u32 s26, 0, s25
	s_delay_alu instid0(VALU_DEP_1) | instskip(NEXT) | instid1(VALU_DEP_1)
	v_fmac_f32_e32 v2, 0x4f800000, v3
	v_rcp_f32_e32 v2, v2
	s_waitcnt_depctr 0xfff
	v_mul_f32_e32 v2, 0x5f7ffffc, v2
	s_delay_alu instid0(VALU_DEP_1) | instskip(NEXT) | instid1(VALU_DEP_1)
	v_mul_f32_e32 v3, 0x2f800000, v2
	v_trunc_f32_e32 v3, v3
	s_delay_alu instid0(VALU_DEP_1) | instskip(SKIP_1) | instid1(VALU_DEP_2)
	v_fmac_f32_e32 v2, 0xcf800000, v3
	v_cvt_u32_f32_e32 v3, v3
	v_cvt_u32_f32_e32 v2, v2
	s_delay_alu instid0(VALU_DEP_2) | instskip(NEXT) | instid1(VALU_DEP_2)
	v_mul_lo_u32 v8, s2, v3
	v_mul_hi_u32 v9, s2, v2
	v_mul_lo_u32 v10, s26, v2
	s_delay_alu instid0(VALU_DEP_2) | instskip(SKIP_1) | instid1(VALU_DEP_2)
	v_add_nc_u32_e32 v8, v9, v8
	v_mul_lo_u32 v9, s2, v2
	v_add_nc_u32_e32 v8, v8, v10
	s_delay_alu instid0(VALU_DEP_2) | instskip(NEXT) | instid1(VALU_DEP_2)
	v_mul_hi_u32 v10, v2, v9
	v_mul_lo_u32 v11, v2, v8
	v_mul_hi_u32 v12, v2, v8
	v_mul_hi_u32 v13, v3, v9
	v_mul_lo_u32 v9, v3, v9
	v_mul_hi_u32 v14, v3, v8
	v_mul_lo_u32 v8, v3, v8
	v_add_co_u32 v10, vcc_lo, v10, v11
	v_add_co_ci_u32_e32 v11, vcc_lo, 0, v12, vcc_lo
	s_delay_alu instid0(VALU_DEP_2) | instskip(NEXT) | instid1(VALU_DEP_2)
	v_add_co_u32 v9, vcc_lo, v10, v9
	v_add_co_ci_u32_e32 v9, vcc_lo, v11, v13, vcc_lo
	v_add_co_ci_u32_e32 v10, vcc_lo, 0, v14, vcc_lo
	s_delay_alu instid0(VALU_DEP_2) | instskip(NEXT) | instid1(VALU_DEP_2)
	v_add_co_u32 v8, vcc_lo, v9, v8
	v_add_co_ci_u32_e32 v9, vcc_lo, 0, v10, vcc_lo
	s_delay_alu instid0(VALU_DEP_2) | instskip(NEXT) | instid1(VALU_DEP_2)
	v_add_co_u32 v2, vcc_lo, v2, v8
	v_add_co_ci_u32_e32 v3, vcc_lo, v3, v9, vcc_lo
	s_delay_alu instid0(VALU_DEP_2) | instskip(SKIP_1) | instid1(VALU_DEP_3)
	v_mul_hi_u32 v8, s2, v2
	v_mul_lo_u32 v10, s26, v2
	v_mul_lo_u32 v9, s2, v3
	s_delay_alu instid0(VALU_DEP_1) | instskip(SKIP_1) | instid1(VALU_DEP_2)
	v_add_nc_u32_e32 v8, v8, v9
	v_mul_lo_u32 v9, s2, v2
	v_add_nc_u32_e32 v8, v8, v10
	s_delay_alu instid0(VALU_DEP_2) | instskip(NEXT) | instid1(VALU_DEP_2)
	v_mul_hi_u32 v10, v2, v9
	v_mul_lo_u32 v11, v2, v8
	v_mul_hi_u32 v12, v2, v8
	v_mul_hi_u32 v13, v3, v9
	v_mul_lo_u32 v9, v3, v9
	v_mul_hi_u32 v14, v3, v8
	v_mul_lo_u32 v8, v3, v8
	v_add_co_u32 v10, vcc_lo, v10, v11
	v_add_co_ci_u32_e32 v11, vcc_lo, 0, v12, vcc_lo
	s_delay_alu instid0(VALU_DEP_2) | instskip(NEXT) | instid1(VALU_DEP_2)
	v_add_co_u32 v9, vcc_lo, v10, v9
	v_add_co_ci_u32_e32 v9, vcc_lo, v11, v13, vcc_lo
	v_add_co_ci_u32_e32 v10, vcc_lo, 0, v14, vcc_lo
	s_delay_alu instid0(VALU_DEP_2) | instskip(NEXT) | instid1(VALU_DEP_2)
	v_add_co_u32 v8, vcc_lo, v9, v8
	v_add_co_ci_u32_e32 v9, vcc_lo, 0, v10, vcc_lo
	s_delay_alu instid0(VALU_DEP_2) | instskip(NEXT) | instid1(VALU_DEP_2)
	v_add_co_u32 v10, vcc_lo, v2, v8
	v_add_co_ci_u32_e32 v12, vcc_lo, v3, v9, vcc_lo
	s_delay_alu instid0(VALU_DEP_2) | instskip(SKIP_1) | instid1(VALU_DEP_3)
	v_mul_hi_u32 v13, v6, v10
	v_mad_u64_u32 v[8:9], null, v7, v10, 0
	v_mad_u64_u32 v[2:3], null, v6, v12, 0
	;; [unrolled: 1-line block ×3, first 2 shown]
	s_delay_alu instid0(VALU_DEP_2) | instskip(NEXT) | instid1(VALU_DEP_3)
	v_add_co_u32 v2, vcc_lo, v13, v2
	v_add_co_ci_u32_e32 v3, vcc_lo, 0, v3, vcc_lo
	s_delay_alu instid0(VALU_DEP_2) | instskip(NEXT) | instid1(VALU_DEP_2)
	v_add_co_u32 v2, vcc_lo, v2, v8
	v_add_co_ci_u32_e32 v2, vcc_lo, v3, v9, vcc_lo
	v_add_co_ci_u32_e32 v3, vcc_lo, 0, v11, vcc_lo
	s_delay_alu instid0(VALU_DEP_2) | instskip(NEXT) | instid1(VALU_DEP_2)
	v_add_co_u32 v8, vcc_lo, v2, v10
	v_add_co_ci_u32_e32 v9, vcc_lo, 0, v3, vcc_lo
	s_delay_alu instid0(VALU_DEP_2) | instskip(SKIP_1) | instid1(VALU_DEP_3)
	v_mul_lo_u32 v10, s25, v8
	v_mad_u64_u32 v[2:3], null, s24, v8, 0
	v_mul_lo_u32 v11, s24, v9
	s_delay_alu instid0(VALU_DEP_2) | instskip(NEXT) | instid1(VALU_DEP_2)
	v_sub_co_u32 v2, vcc_lo, v6, v2
	v_add3_u32 v3, v3, v11, v10
	s_delay_alu instid0(VALU_DEP_1) | instskip(NEXT) | instid1(VALU_DEP_1)
	v_sub_nc_u32_e32 v10, v7, v3
	v_subrev_co_ci_u32_e64 v10, s2, s25, v10, vcc_lo
	v_add_co_u32 v11, s2, v8, 2
	s_delay_alu instid0(VALU_DEP_1) | instskip(SKIP_3) | instid1(VALU_DEP_3)
	v_add_co_ci_u32_e64 v12, s2, 0, v9, s2
	v_sub_co_u32 v13, s2, v2, s24
	v_sub_co_ci_u32_e32 v3, vcc_lo, v7, v3, vcc_lo
	v_subrev_co_ci_u32_e64 v10, s2, 0, v10, s2
	v_cmp_le_u32_e32 vcc_lo, s24, v13
	s_delay_alu instid0(VALU_DEP_3) | instskip(SKIP_1) | instid1(VALU_DEP_4)
	v_cmp_eq_u32_e64 s2, s25, v3
	v_cndmask_b32_e64 v13, 0, -1, vcc_lo
	v_cmp_le_u32_e32 vcc_lo, s25, v10
	v_cndmask_b32_e64 v14, 0, -1, vcc_lo
	v_cmp_le_u32_e32 vcc_lo, s24, v2
	;; [unrolled: 2-line block ×3, first 2 shown]
	v_cndmask_b32_e64 v15, 0, -1, vcc_lo
	v_cmp_eq_u32_e32 vcc_lo, s25, v10
	s_delay_alu instid0(VALU_DEP_2) | instskip(SKIP_3) | instid1(VALU_DEP_3)
	v_cndmask_b32_e64 v2, v15, v2, s2
	v_cndmask_b32_e32 v10, v14, v13, vcc_lo
	v_add_co_u32 v13, vcc_lo, v8, 1
	v_add_co_ci_u32_e32 v14, vcc_lo, 0, v9, vcc_lo
	v_cmp_ne_u32_e32 vcc_lo, 0, v10
	s_delay_alu instid0(VALU_DEP_2) | instskip(SKIP_1) | instid1(VALU_DEP_2)
	v_dual_cndmask_b32 v3, v14, v12 :: v_dual_cndmask_b32 v10, v13, v11
	v_cmp_ne_u32_e32 vcc_lo, 0, v2
	v_dual_cndmask_b32 v31, v9, v3 :: v_dual_cndmask_b32 v30, v8, v10
.LBB0_4:                                ;   in Loop: Header=BB0_2 Depth=1
	s_and_not1_saveexec_b32 s2, s3
	s_cbranch_execz .LBB0_6
; %bb.5:                                ;   in Loop: Header=BB0_2 Depth=1
	v_cvt_f32_u32_e32 v2, s24
	s_sub_i32 s3, 0, s24
	v_mov_b32_e32 v31, v1
	s_delay_alu instid0(VALU_DEP_2) | instskip(SKIP_2) | instid1(VALU_DEP_1)
	v_rcp_iflag_f32_e32 v2, v2
	s_waitcnt_depctr 0xfff
	v_mul_f32_e32 v2, 0x4f7ffffe, v2
	v_cvt_u32_f32_e32 v2, v2
	s_delay_alu instid0(VALU_DEP_1) | instskip(NEXT) | instid1(VALU_DEP_1)
	v_mul_lo_u32 v3, s3, v2
	v_mul_hi_u32 v3, v2, v3
	s_delay_alu instid0(VALU_DEP_1) | instskip(NEXT) | instid1(VALU_DEP_1)
	v_add_nc_u32_e32 v2, v2, v3
	v_mul_hi_u32 v2, v6, v2
	s_delay_alu instid0(VALU_DEP_1) | instskip(SKIP_1) | instid1(VALU_DEP_2)
	v_mul_lo_u32 v3, v2, s24
	v_add_nc_u32_e32 v8, 1, v2
	v_sub_nc_u32_e32 v3, v6, v3
	s_delay_alu instid0(VALU_DEP_1) | instskip(SKIP_1) | instid1(VALU_DEP_2)
	v_subrev_nc_u32_e32 v9, s24, v3
	v_cmp_le_u32_e32 vcc_lo, s24, v3
	v_dual_cndmask_b32 v3, v3, v9 :: v_dual_cndmask_b32 v2, v2, v8
	s_delay_alu instid0(VALU_DEP_1) | instskip(NEXT) | instid1(VALU_DEP_2)
	v_cmp_le_u32_e32 vcc_lo, s24, v3
	v_add_nc_u32_e32 v8, 1, v2
	s_delay_alu instid0(VALU_DEP_1)
	v_cndmask_b32_e32 v30, v2, v8, vcc_lo
.LBB0_6:                                ;   in Loop: Header=BB0_2 Depth=1
	s_or_b32 exec_lo, exec_lo, s2
	s_delay_alu instid0(VALU_DEP_1) | instskip(NEXT) | instid1(VALU_DEP_2)
	v_mul_lo_u32 v8, v31, s24
	v_mul_lo_u32 v9, v30, s25
	s_load_b64 s[2:3], s[14:15], 0x0
	v_mad_u64_u32 v[2:3], null, v30, s24, 0
	s_load_b64 s[24:25], s[12:13], 0x0
	s_add_u32 s22, s22, 1
	s_addc_u32 s23, s23, 0
	s_add_u32 s12, s12, 8
	s_addc_u32 s13, s13, 0
	s_add_u32 s14, s14, 8
	s_delay_alu instid0(VALU_DEP_1) | instskip(SKIP_3) | instid1(VALU_DEP_2)
	v_add3_u32 v3, v3, v9, v8
	v_sub_co_u32 v8, vcc_lo, v6, v2
	s_addc_u32 s15, s15, 0
	s_add_u32 s20, s20, 8
	v_sub_co_ci_u32_e32 v6, vcc_lo, v7, v3, vcc_lo
	s_addc_u32 s21, s21, 0
	s_waitcnt lgkmcnt(0)
	s_delay_alu instid0(VALU_DEP_1)
	v_mul_lo_u32 v9, s2, v6
	v_mul_lo_u32 v10, s3, v8
	v_mad_u64_u32 v[2:3], null, s2, v8, v[4:5]
	v_mul_lo_u32 v11, s24, v6
	v_mul_lo_u32 v12, s25, v8
	v_mad_u64_u32 v[6:7], null, s24, v8, v[28:29]
	v_cmp_ge_u64_e64 s2, s[22:23], s[10:11]
	v_add3_u32 v5, v10, v3, v9
	v_mov_b32_e32 v4, v2
	s_delay_alu instid0(VALU_DEP_4)
	v_add3_u32 v29, v12, v7, v11
	v_mov_b32_e32 v28, v6
	s_and_b32 vcc_lo, exec_lo, s2
	s_cbranch_vccnz .LBB0_9
; %bb.7:                                ;   in Loop: Header=BB0_2 Depth=1
	v_dual_mov_b32 v6, v30 :: v_dual_mov_b32 v7, v31
	s_branch .LBB0_2
.LBB0_8:
	v_dual_mov_b32 v29, v5 :: v_dual_mov_b32 v28, v4
	v_dual_mov_b32 v31, v7 :: v_dual_mov_b32 v30, v6
.LBB0_9:
	s_load_b64 s[0:1], s[0:1], 0x28
	v_mul_hi_u32 v1, 0x1bdd2b9, v0
	s_lshl_b64 s[10:11], s[10:11], 3
                                        ; implicit-def: $vgpr26_vgpr27
                                        ; implicit-def: $vgpr18_vgpr19
                                        ; implicit-def: $vgpr10_vgpr11
                                        ; implicit-def: $vgpr14_vgpr15
                                        ; implicit-def: $vgpr22_vgpr23
                                        ; implicit-def: $vgpr6_vgpr7
                                        ; implicit-def: $vgpr2_vgpr3
	s_delay_alu instid0(SALU_CYCLE_1) | instskip(SKIP_1) | instid1(VALU_DEP_1)
	s_add_u32 s2, s18, s10
	s_addc_u32 s3, s19, s11
	v_mul_u32_u24_e32 v1, 0x93, v1
	s_delay_alu instid0(VALU_DEP_1) | instskip(NEXT) | instid1(VALU_DEP_1)
	v_sub_nc_u32_e32 v32, v0, v1
	v_cmp_gt_u32_e32 vcc_lo, 0x69, v32
	s_waitcnt lgkmcnt(0)
	v_cmp_gt_u64_e64 s0, s[0:1], v[30:31]
	s_delay_alu instid0(VALU_DEP_1) | instskip(NEXT) | instid1(SALU_CYCLE_1)
	s_and_b32 s1, s0, vcc_lo
	s_and_saveexec_b32 s12, s1
	s_cbranch_execz .LBB0_11
; %bb.10:
	s_add_u32 s10, s16, s10
	s_addc_u32 s11, s17, s11
	v_mov_b32_e32 v33, 0
	s_load_b64 s[10:11], s[10:11], 0x0
	s_waitcnt lgkmcnt(0)
	v_mul_lo_u32 v2, s11, v30
	v_mul_lo_u32 v3, s10, v31
	v_mad_u64_u32 v[0:1], null, s10, v30, 0
	s_delay_alu instid0(VALU_DEP_1) | instskip(SKIP_1) | instid1(VALU_DEP_2)
	v_add3_u32 v1, v1, v3, v2
	v_lshlrev_b64 v[2:3], 4, v[4:5]
	v_lshlrev_b64 v[0:1], 4, v[0:1]
	s_delay_alu instid0(VALU_DEP_1) | instskip(NEXT) | instid1(VALU_DEP_1)
	v_add_co_u32 v4, s0, s4, v0
	v_add_co_ci_u32_e64 v5, s0, s5, v1, s0
	v_lshlrev_b64 v[0:1], 4, v[32:33]
	s_delay_alu instid0(VALU_DEP_3) | instskip(NEXT) | instid1(VALU_DEP_1)
	v_add_co_u32 v2, s0, v4, v2
	v_add_co_ci_u32_e64 v3, s0, v5, v3, s0
	s_delay_alu instid0(VALU_DEP_2) | instskip(NEXT) | instid1(VALU_DEP_1)
	v_add_co_u32 v8, s0, v2, v0
	v_add_co_ci_u32_e64 v9, s0, v3, v1, s0
	s_delay_alu instid0(VALU_DEP_2) | instskip(NEXT) | instid1(VALU_DEP_1)
	v_add_co_u32 v10, s0, 0x1000, v8
	v_add_co_ci_u32_e64 v11, s0, 0, v9, s0
	v_add_co_u32 v24, s0, 0x2000, v8
	s_delay_alu instid0(VALU_DEP_1)
	v_add_co_ci_u32_e64 v25, s0, 0, v9, s0
	s_clause 0x6
	global_load_b128 v[0:3], v[8:9], off
	global_load_b128 v[4:7], v[8:9], off offset:1680
	global_load_b128 v[20:23], v[8:9], off offset:3360
	global_load_b128 v[12:15], v[10:11], off offset:944
	global_load_b128 v[8:11], v[10:11], off offset:2624
	global_load_b128 v[16:19], v[24:25], off offset:208
	global_load_b128 v[24:27], v[24:25], off offset:1888
.LBB0_11:
	s_or_b32 exec_lo, exec_lo, s12
	s_waitcnt vmcnt(0)
	v_add_f64 v[33:34], v[24:25], v[4:5]
	v_add_f64 v[35:36], v[26:27], v[6:7]
	;; [unrolled: 1-line block ×4, first 2 shown]
	v_add_f64 v[16:17], v[20:21], -v[16:17]
	v_add_f64 v[18:19], v[22:23], -v[18:19]
	v_add_f64 v[20:21], v[8:9], v[12:13]
	v_add_f64 v[22:23], v[10:11], v[14:15]
	v_add_f64 v[8:9], v[8:9], -v[12:13]
	v_add_f64 v[10:11], v[10:11], -v[14:15]
	;; [unrolled: 1-line block ×4, first 2 shown]
	s_mov_b32 s10, 0xe976ee23
	s_mov_b32 s4, 0x36b3c0b5
	;; [unrolled: 1-line block ×10, first 2 shown]
	v_add_f64 v[12:13], v[37:38], v[33:34]
	v_add_f64 v[14:15], v[39:40], v[35:36]
	v_add_f64 v[24:25], v[20:21], -v[37:38]
	v_add_f64 v[26:27], v[22:23], -v[39:40]
	;; [unrolled: 1-line block ×6, first 2 shown]
	v_add_f64 v[12:13], v[20:21], v[12:13]
	v_add_f64 v[14:15], v[22:23], v[14:15]
	v_add_f64 v[20:21], v[33:34], -v[20:21]
	v_add_f64 v[22:23], v[35:36], -v[22:23]
	;; [unrolled: 1-line block ×4, first 2 shown]
	v_mul_f64 v[41:42], v[41:42], s[10:11]
	v_mul_f64 v[43:44], v[43:44], s[10:11]
	s_mov_b32 s10, 0x37e14327
	v_add_f64 v[37:38], v[8:9], v[16:17]
	v_add_f64 v[39:40], v[10:11], v[18:19]
	v_add_f64 v[8:9], v[4:5], -v[8:9]
	v_add_f64 v[10:11], v[6:7], -v[10:11]
	v_mul_f64 v[49:50], v[24:25], s[4:5]
	v_mul_f64 v[51:52], v[26:27], s[4:5]
	s_mov_b32 s11, 0x3fe948f6
	v_add_f64 v[16:17], v[0:1], v[12:13]
	v_add_f64 v[18:19], v[2:3], v[14:15]
	v_mul_f64 v[0:1], v[45:46], s[12:13]
	v_mul_f64 v[2:3], v[47:48], s[12:13]
	;; [unrolled: 1-line block ×4, first 2 shown]
	s_mov_b32 s10, 0xaaaaaaaa
	s_mov_b32 s11, 0xbff2aaaa
	v_add_f64 v[4:5], v[37:38], v[4:5]
	v_add_f64 v[6:7], v[39:40], v[6:7]
	v_fma_f64 v[37:38], v[33:34], s[14:15], -v[49:50]
	v_fma_f64 v[39:40], v[35:36], s[14:15], -v[51:52]
	s_mov_b32 s15, 0xbfe77f67
	v_fma_f64 v[49:50], v[8:9], s[16:17], v[41:42]
	v_fma_f64 v[51:52], v[10:11], s[16:17], v[43:44]
	s_mov_b32 s17, 0xbfd5d0dc
	v_fma_f64 v[41:42], v[45:46], s[12:13], -v[41:42]
	v_fma_f64 v[43:44], v[47:48], s[12:13], -v[43:44]
	v_fma_f64 v[12:13], v[12:13], s[10:11], v[16:17]
	v_fma_f64 v[14:15], v[14:15], s[10:11], v[18:19]
	v_fma_f64 v[0:1], v[8:9], s[16:17], -v[0:1]
	v_fma_f64 v[2:3], v[10:11], s[16:17], -v[2:3]
	;; [unrolled: 1-line block ×4, first 2 shown]
	v_fma_f64 v[33:34], v[24:25], s[4:5], v[20:21]
	v_fma_f64 v[35:36], v[26:27], s[4:5], v[22:23]
	s_mov_b32 s4, 0x37c3f68c
	s_mov_b32 s5, 0x3fdc38aa
	s_delay_alu instid0(SALU_CYCLE_1)
	v_fma_f64 v[22:23], v[4:5], s[4:5], v[49:50]
	v_fma_f64 v[20:21], v[6:7], s[4:5], v[51:52]
	;; [unrolled: 1-line block ×4, first 2 shown]
	v_add_f64 v[45:46], v[37:38], v[12:13]
	v_add_f64 v[47:48], v[39:40], v[14:15]
	v_fma_f64 v[37:38], v[4:5], s[4:5], v[0:1]
	v_fma_f64 v[24:25], v[6:7], s[4:5], v[2:3]
	v_add_f64 v[26:27], v[8:9], v[12:13]
	v_add_f64 v[39:40], v[10:11], v[14:15]
	;; [unrolled: 1-line block ×4, first 2 shown]
	v_add_f64 v[8:9], v[45:46], -v[43:44]
	v_add_f64 v[10:11], v[41:42], v[47:48]
	v_add_f64 v[4:5], v[43:44], v[45:46]
	v_add_f64 v[6:7], v[47:48], -v[41:42]
	v_add_f64 v[12:13], v[26:27], -v[24:25]
	v_add_f64 v[14:15], v[37:38], v[39:40]
	v_add_f64 v[0:1], v[33:34], -v[20:21]
	v_add_f64 v[2:3], v[22:23], v[35:36]
	s_and_saveexec_b32 s0, vcc_lo
	s_cbranch_execz .LBB0_13
; %bb.12:
	v_add_f64 v[22:23], v[35:36], -v[22:23]
	v_add_f64 v[20:21], v[20:21], v[33:34]
	v_add_f64 v[37:38], v[39:40], -v[37:38]
	v_add_f64 v[35:36], v[24:25], v[26:27]
	v_mad_u32_u24 v24, 0x70, v32, 0
	ds_store_b128 v24, v[4:7] offset:64
	ds_store_b128 v24, v[12:15] offset:80
	ds_store_b128 v24, v[16:19]
	ds_store_b128 v24, v[20:23] offset:16
	ds_store_b128 v24, v[35:38] offset:32
	;; [unrolled: 1-line block ×4, first 2 shown]
.LBB0_13:
	s_or_b32 exec_lo, exec_lo, s0
	v_lshl_add_u32 v33, v32, 4, 0
	s_waitcnt lgkmcnt(0)
	s_barrier
	buffer_gl0_inv
	v_cmp_gt_u32_e64 s0, 0x62, v32
	ds_load_b128 v[16:19], v33
	ds_load_b128 v[24:27], v33 offset:3920
	ds_load_b128 v[20:23], v33 offset:7840
	s_and_saveexec_b32 s4, s0
	s_cbranch_execz .LBB0_15
; %bb.14:
	ds_load_b128 v[8:11], v33 offset:2352
	ds_load_b128 v[4:7], v33 offset:6272
	;; [unrolled: 1-line block ×3, first 2 shown]
.LBB0_15:
	s_or_b32 exec_lo, exec_lo, s4
	v_and_b32_e32 v34, 0xff, v32
	v_add_nc_u32_e32 v35, 0x93, v32
	s_mov_b32 s4, 0xe8584caa
	s_mov_b32 s5, 0x3febb67a
	;; [unrolled: 1-line block ×3, first 2 shown]
	v_mul_lo_u16 v36, v34, 37
	v_and_b32_e32 v37, 0xffff, v35
	s_mov_b32 s10, s4
	s_delay_alu instid0(VALU_DEP_2) | instskip(NEXT) | instid1(VALU_DEP_2)
	v_lshrrev_b16 v36, 8, v36
	v_mul_u32_u24_e32 v37, 0x2493, v37
	s_delay_alu instid0(VALU_DEP_2) | instskip(NEXT) | instid1(VALU_DEP_2)
	v_sub_nc_u16 v38, v32, v36
	v_lshrrev_b32_e32 v37, 16, v37
	s_delay_alu instid0(VALU_DEP_2) | instskip(NEXT) | instid1(VALU_DEP_2)
	v_lshrrev_b16 v38, 1, v38
	v_sub_nc_u16 v39, v35, v37
	s_delay_alu instid0(VALU_DEP_2) | instskip(NEXT) | instid1(VALU_DEP_2)
	v_and_b32_e32 v38, 0x7f, v38
	v_lshrrev_b16 v39, 1, v39
	s_delay_alu instid0(VALU_DEP_2) | instskip(NEXT) | instid1(VALU_DEP_2)
	v_add_nc_u16 v36, v38, v36
	v_add_nc_u16 v37, v39, v37
	s_delay_alu instid0(VALU_DEP_2) | instskip(NEXT) | instid1(VALU_DEP_2)
	v_lshrrev_b16 v61, 2, v36
	v_lshrrev_b16 v36, 2, v37
	s_delay_alu instid0(VALU_DEP_2) | instskip(NEXT) | instid1(VALU_DEP_2)
	v_mul_lo_u16 v37, v61, 7
	v_mul_lo_u16 v36, v36, 7
	s_delay_alu instid0(VALU_DEP_2) | instskip(NEXT) | instid1(VALU_DEP_2)
	v_sub_nc_u16 v37, v32, v37
	v_sub_nc_u16 v36, v35, v36
	s_delay_alu instid0(VALU_DEP_2) | instskip(NEXT) | instid1(VALU_DEP_2)
	v_and_b32_e32 v62, 0xff, v37
	v_and_b32_e32 v36, 0xffff, v36
	s_delay_alu instid0(VALU_DEP_2) | instskip(NEXT) | instid1(VALU_DEP_2)
	v_lshlrev_b32_e32 v41, 5, v62
	v_lshlrev_b32_e32 v49, 5, v36
	s_clause 0x3
	global_load_b128 v[37:40], v41, s[8:9]
	global_load_b128 v[41:44], v41, s[8:9] offset:16
	global_load_b128 v[45:48], v49, s[8:9]
	global_load_b128 v[49:52], v49, s[8:9] offset:16
	s_load_b64 s[2:3], s[2:3], 0x0
	s_waitcnt vmcnt(0) lgkmcnt(0)
	s_barrier
	buffer_gl0_inv
	v_mul_f64 v[53:54], v[26:27], v[39:40]
	v_mul_f64 v[39:40], v[24:25], v[39:40]
	;; [unrolled: 1-line block ×8, first 2 shown]
	v_fma_f64 v[24:25], v[24:25], v[37:38], -v[53:54]
	v_fma_f64 v[26:27], v[26:27], v[37:38], v[39:40]
	v_fma_f64 v[37:38], v[20:21], v[41:42], -v[55:56]
	v_fma_f64 v[39:40], v[22:23], v[41:42], v[43:44]
	;; [unrolled: 2-line block ×4, first 2 shown]
	v_add_f64 v[45:46], v[16:17], v[24:25]
	v_add_f64 v[49:50], v[18:19], v[26:27]
	;; [unrolled: 1-line block ×4, first 2 shown]
	v_add_f64 v[47:48], v[26:27], -v[39:40]
	v_add_f64 v[51:52], v[24:25], -v[37:38]
	v_add_f64 v[41:42], v[20:21], v[12:13]
	v_add_f64 v[43:44], v[22:23], v[14:15]
	v_add_f64 v[24:25], v[22:23], -v[14:15]
	v_add_f64 v[26:27], v[20:21], -v[12:13]
	v_add_f64 v[37:38], v[45:46], v[37:38]
	v_add_f64 v[39:40], v[49:50], v[39:40]
	v_fma_f64 v[4:5], v[4:5], -0.5, v[16:17]
	v_fma_f64 v[6:7], v[6:7], -0.5, v[18:19]
	v_and_b32_e32 v49, 0xffff, v61
	v_lshlrev_b32_e32 v50, 4, v62
	v_fma_f64 v[16:17], v[41:42], -0.5, v[8:9]
	v_fma_f64 v[18:19], v[43:44], -0.5, v[10:11]
	s_delay_alu instid0(VALU_DEP_4) | instskip(NEXT) | instid1(VALU_DEP_1)
	v_mul_u32_u24_e32 v49, 0x150, v49
	v_add3_u32 v49, 0, v49, v50
	v_fma_f64 v[41:42], v[47:48], s[4:5], v[4:5]
	v_fma_f64 v[45:46], v[47:48], s[10:11], v[4:5]
	;; [unrolled: 1-line block ×6, first 2 shown]
	ds_store_b128 v49, v[37:40]
	ds_store_b128 v49, v[41:44] offset:112
	ds_store_b128 v49, v[45:48] offset:224
	s_and_saveexec_b32 s10, s0
	s_cbranch_execz .LBB0_17
; %bb.16:
	v_add_f64 v[22:23], v[10:11], v[22:23]
	v_add_f64 v[8:9], v[8:9], v[20:21]
	v_mul_f64 v[26:27], v[26:27], s[4:5]
	v_mul_f64 v[20:21], v[24:25], s[4:5]
	v_and_b32_e32 v10, 0xff, v35
	s_delay_alu instid0(VALU_DEP_1) | instskip(NEXT) | instid1(VALU_DEP_1)
	v_mul_lo_u16 v10, v10, 37
	v_lshrrev_b16 v24, 8, v10
	s_delay_alu instid0(VALU_DEP_1)
	v_sub_nc_u16 v25, v35, v24
	v_add_f64 v[14:15], v[22:23], v[14:15]
	v_add_f64 v[12:13], v[8:9], v[12:13]
	v_add_f64 v[10:11], v[18:19], -v[26:27]
	v_add_f64 v[8:9], v[20:21], v[16:17]
	v_lshrrev_b16 v16, 1, v25
	v_lshlrev_b32_e32 v17, 4, v36
	s_delay_alu instid0(VALU_DEP_2) | instskip(NEXT) | instid1(VALU_DEP_1)
	v_and_b32_e32 v16, 0x7f, v16
	v_add_nc_u16 v16, v16, v24
	s_delay_alu instid0(VALU_DEP_1) | instskip(NEXT) | instid1(VALU_DEP_1)
	v_lshrrev_b16 v16, 2, v16
	v_and_b32_e32 v16, 0xffff, v16
	s_delay_alu instid0(VALU_DEP_1) | instskip(NEXT) | instid1(VALU_DEP_1)
	v_mul_u32_u24_e32 v16, 0x150, v16
	v_add3_u32 v16, 0, v16, v17
	ds_store_b128 v16, v[12:15]
	ds_store_b128 v16, v[8:11] offset:112
	ds_store_b128 v16, v[4:7] offset:224
.LBB0_17:
	s_or_b32 exec_lo, exec_lo, s10
	v_mul_lo_u16 v8, 0x87, v34
	s_waitcnt lgkmcnt(0)
	s_barrier
	buffer_gl0_inv
	s_mov_b32 s4, 0x134454ff
	v_lshrrev_b16 v8, 8, v8
	s_mov_b32 s5, 0x3fee6f0e
	s_mov_b32 s11, 0xbfee6f0e
	;; [unrolled: 1-line block ×3, first 2 shown]
	s_delay_alu instid0(VALU_DEP_1) | instskip(NEXT) | instid1(VALU_DEP_1)
	v_sub_nc_u16 v9, v32, v8
	v_lshrrev_b16 v9, 1, v9
	s_delay_alu instid0(VALU_DEP_1) | instskip(NEXT) | instid1(VALU_DEP_1)
	v_and_b32_e32 v9, 0x7f, v9
	v_add_nc_u16 v8, v9, v8
	s_delay_alu instid0(VALU_DEP_1) | instskip(NEXT) | instid1(VALU_DEP_1)
	v_lshrrev_b16 v8, 4, v8
	v_and_b32_e32 v66, 15, v8
	s_delay_alu instid0(VALU_DEP_1) | instskip(NEXT) | instid1(VALU_DEP_1)
	v_mul_lo_u16 v8, v66, 21
	v_sub_nc_u16 v8, v32, v8
	s_delay_alu instid0(VALU_DEP_1) | instskip(NEXT) | instid1(VALU_DEP_1)
	v_and_b32_e32 v67, 0xff, v8
	v_lshlrev_b32_e32 v20, 6, v67
	s_clause 0x3
	global_load_b128 v[8:11], v20, s[8:9] offset:224
	global_load_b128 v[12:15], v20, s[8:9] offset:240
	;; [unrolled: 1-line block ×4, first 2 shown]
	ds_load_b128 v[24:27], v33 offset:2352
	ds_load_b128 v[34:37], v33 offset:4704
	;; [unrolled: 1-line block ×4, first 2 shown]
	s_waitcnt vmcnt(3) lgkmcnt(3)
	v_mul_f64 v[46:47], v[26:27], v[10:11]
	s_waitcnt vmcnt(2) lgkmcnt(2)
	v_mul_f64 v[48:49], v[36:37], v[14:15]
	;; [unrolled: 2-line block ×3, first 2 shown]
	v_mul_f64 v[10:11], v[24:25], v[10:11]
	s_waitcnt vmcnt(0) lgkmcnt(0)
	v_mul_f64 v[52:53], v[44:45], v[22:23]
	v_mul_f64 v[14:15], v[34:35], v[14:15]
	;; [unrolled: 1-line block ×4, first 2 shown]
	v_fma_f64 v[24:25], v[24:25], v[8:9], -v[46:47]
	v_fma_f64 v[34:35], v[34:35], v[12:13], -v[48:49]
	;; [unrolled: 1-line block ×3, first 2 shown]
	v_fma_f64 v[26:27], v[26:27], v[8:9], v[10:11]
	v_fma_f64 v[42:43], v[42:43], v[20:21], -v[52:53]
	v_fma_f64 v[12:13], v[36:37], v[12:13], v[14:15]
	v_fma_f64 v[14:15], v[40:41], v[16:17], v[18:19]
	;; [unrolled: 1-line block ×3, first 2 shown]
	ds_load_b128 v[8:11], v33
	s_waitcnt lgkmcnt(0)
	s_barrier
	buffer_gl0_inv
	v_add_f64 v[40:41], v[8:9], v[24:25]
	v_add_f64 v[18:19], v[34:35], v[38:39]
	;; [unrolled: 1-line block ×4, first 2 shown]
	v_add_f64 v[50:51], v[24:25], -v[42:43]
	v_add_f64 v[22:23], v[12:13], v[14:15]
	v_add_f64 v[36:37], v[26:27], v[16:17]
	v_add_f64 v[44:45], v[26:27], -v[16:17]
	v_add_f64 v[46:47], v[12:13], -v[14:15]
	;; [unrolled: 1-line block ×8, first 2 shown]
	v_fma_f64 v[18:19], v[18:19], -0.5, v[8:9]
	v_add_f64 v[12:13], v[48:49], v[12:13]
	v_fma_f64 v[8:9], v[20:21], -0.5, v[8:9]
	v_add_f64 v[20:21], v[34:35], -v[38:39]
	v_fma_f64 v[22:23], v[22:23], -0.5, v[10:11]
	v_fma_f64 v[10:11], v[36:37], -0.5, v[10:11]
	v_add_f64 v[36:37], v[24:25], -v[34:35]
	v_add_f64 v[24:25], v[34:35], -v[24:25]
	v_add_f64 v[34:35], v[40:41], v[34:35]
	v_add_f64 v[26:27], v[26:27], v[60:61]
	v_fma_f64 v[40:41], v[44:45], s[4:5], v[18:19]
	v_fma_f64 v[18:19], v[44:45], s[10:11], v[18:19]
	;; [unrolled: 1-line block ×8, first 2 shown]
	s_mov_b32 s4, 0x4755a5e
	s_mov_b32 s5, 0x3fe2cf23
	;; [unrolled: 1-line block ×4, first 2 shown]
	v_add_f64 v[36:37], v[36:37], v[52:53]
	v_add_f64 v[52:53], v[24:25], v[54:55]
	;; [unrolled: 1-line block ×5, first 2 shown]
	v_fma_f64 v[14:15], v[46:47], s[4:5], v[40:41]
	v_fma_f64 v[18:19], v[46:47], s[10:11], v[18:19]
	;; [unrolled: 1-line block ×8, first 2 shown]
	s_mov_b32 s4, 0x372fe950
	s_mov_b32 s5, 0x3fd3c6ef
	v_add_f64 v[8:9], v[24:25], v[42:43]
	v_add_f64 v[10:11], v[12:13], v[16:17]
	v_fma_f64 v[12:13], v[36:37], s[4:5], v[14:15]
	v_fma_f64 v[24:25], v[36:37], s[4:5], v[18:19]
	;; [unrolled: 1-line block ×8, first 2 shown]
	v_and_b32_e32 v34, 0xffff, v66
	v_lshlrev_b32_e32 v35, 4, v67
	s_delay_alu instid0(VALU_DEP_2) | instskip(NEXT) | instid1(VALU_DEP_1)
	v_mul_u32_u24_e32 v34, 0x690, v34
	v_add3_u32 v34, 0, v34, v35
	ds_store_b128 v34, v[8:11]
	ds_store_b128 v34, v[12:15] offset:336
	ds_store_b128 v34, v[16:19] offset:672
	;; [unrolled: 1-line block ×4, first 2 shown]
	s_waitcnt lgkmcnt(0)
	s_barrier
	buffer_gl0_inv
	s_and_saveexec_b32 s0, vcc_lo
	s_cbranch_execnz .LBB0_20
; %bb.18:
	s_or_b32 exec_lo, exec_lo, s0
	s_and_saveexec_b32 s0, s1
	s_cbranch_execnz .LBB0_21
.LBB0_19:
	s_endpgm
.LBB0_20:
	ds_load_b128 v[8:11], v33
	ds_load_b128 v[12:15], v33 offset:1680
	ds_load_b128 v[16:19], v33 offset:3360
	;; [unrolled: 1-line block ×6, first 2 shown]
	s_or_b32 exec_lo, exec_lo, s0
	s_and_saveexec_b32 s0, s1
	s_cbranch_execz .LBB0_19
.LBB0_21:
	v_mul_u32_u24_e32 v33, 6, v32
	s_mov_b32 s0, 0xe976ee23
	s_mov_b32 s1, 0xbfe11646
	;; [unrolled: 1-line block ×4, first 2 shown]
	v_lshlrev_b32_e32 v53, 4, v33
	s_mov_b32 s13, 0xbfe77f67
	s_mov_b32 s12, 0x5476071b
	;; [unrolled: 1-line block ×4, first 2 shown]
	s_clause 0x5
	global_load_b128 v[33:36], v53, s[8:9] offset:1584
	global_load_b128 v[37:40], v53, s[8:9] offset:1632
	;; [unrolled: 1-line block ×6, first 2 shown]
	s_mov_b32 s8, 0x429ad128
	s_mov_b32 s9, 0x3febfeb5
	v_lshlrev_b64 v[28:29], 4, v[28:29]
	s_waitcnt vmcnt(5) lgkmcnt(4)
	v_mul_f64 v[57:58], v[16:17], v[35:36]
	s_waitcnt vmcnt(4) lgkmcnt(1)
	v_mul_f64 v[59:60], v[4:5], v[39:40]
	s_waitcnt vmcnt(3)
	v_mul_f64 v[61:62], v[12:13], v[43:44]
	s_waitcnt vmcnt(2) lgkmcnt(0)
	v_mul_f64 v[63:64], v[0:1], v[47:48]
	v_mul_f64 v[35:36], v[18:19], v[35:36]
	;; [unrolled: 1-line block ×5, first 2 shown]
	s_waitcnt vmcnt(1)
	v_mul_f64 v[65:66], v[26:27], v[51:52]
	s_waitcnt vmcnt(0)
	v_mul_f64 v[67:68], v[22:23], v[55:56]
	v_mul_f64 v[55:56], v[20:21], v[55:56]
	;; [unrolled: 1-line block ×3, first 2 shown]
	v_fma_f64 v[18:19], v[18:19], v[33:34], v[57:58]
	v_fma_f64 v[6:7], v[6:7], v[37:38], v[59:60]
	v_fma_f64 v[14:15], v[14:15], v[41:42], v[61:62]
	v_fma_f64 v[2:3], v[2:3], v[45:46], v[63:64]
	v_fma_f64 v[16:17], v[16:17], v[33:34], -v[35:36]
	v_fma_f64 v[4:5], v[4:5], v[37:38], -v[39:40]
	;; [unrolled: 1-line block ×6, first 2 shown]
	v_fma_f64 v[22:23], v[22:23], v[53:54], v[55:56]
	v_fma_f64 v[26:27], v[26:27], v[49:50], v[51:52]
	v_add_f64 v[33:34], v[18:19], v[6:7]
	v_add_f64 v[6:7], v[18:19], -v[6:7]
	v_add_f64 v[35:36], v[14:15], v[2:3]
	v_add_f64 v[14:15], v[14:15], -v[2:3]
	;; [unrolled: 2-line block ×4, first 2 shown]
	v_add_f64 v[41:42], v[24:25], -v[20:21]
	v_add_f64 v[18:19], v[24:25], v[20:21]
	v_add_f64 v[16:17], v[26:27], v[22:23]
	v_add_f64 v[22:23], v[26:27], -v[22:23]
	v_add_f64 v[0:1], v[33:34], v[35:36]
	v_add_f64 v[49:50], v[6:7], -v[14:15]
	;; [unrolled: 2-line block ×3, first 2 shown]
	v_add_f64 v[20:21], v[41:42], -v[4:5]
	v_add_f64 v[43:44], v[39:40], -v[18:19]
	;; [unrolled: 1-line block ×4, first 2 shown]
	v_add_f64 v[4:5], v[41:42], v[4:5]
	v_add_f64 v[41:42], v[12:13], -v[41:42]
	v_add_f64 v[53:54], v[14:15], -v[22:23]
	v_add_f64 v[6:7], v[22:23], v[6:7]
	v_add_f64 v[47:48], v[16:17], v[0:1]
	v_add_f64 v[16:17], v[16:17], -v[33:34]
	v_add_f64 v[33:34], v[33:34], -v[35:36]
	;; [unrolled: 1-line block ×3, first 2 shown]
	v_add_f64 v[51:52], v[18:19], v[2:3]
	v_add_f64 v[18:19], v[18:19], -v[37:38]
	v_mul_f64 v[20:21], v[20:21], s[0:1]
	v_mul_f64 v[37:38], v[43:44], s[4:5]
	;; [unrolled: 1-line block ×4, first 2 shown]
	s_mov_b32 s0, 0x36b3c0b5
	s_mov_b32 s1, 0x3fac98ee
	v_mul_f64 v[39:40], v[45:46], s[8:9]
	v_mul_f64 v[22:23], v[49:50], s[8:9]
	s_mov_b32 s5, 0x3fd5d0dc
	s_mov_b32 s4, 0xb247c609
	v_add_f64 v[4:5], v[4:5], v[12:13]
	v_add_f64 v[6:7], v[6:7], v[14:15]
	;; [unrolled: 1-line block ×3, first 2 shown]
	v_mul_f64 v[10:11], v[16:17], s[0:1]
	v_add_f64 v[0:1], v[8:9], v[51:52]
	v_mul_f64 v[8:9], v[18:19], s[0:1]
	v_fma_f64 v[12:13], v[41:42], s[4:5], v[20:21]
	v_fma_f64 v[55:56], v[35:36], s[12:13], -v[37:38]
	v_fma_f64 v[16:17], v[16:17], s[0:1], v[24:25]
	v_fma_f64 v[43:44], v[53:54], s[4:5], v[26:27]
	s_mov_b32 s5, 0xbfd5d0dc
	v_fma_f64 v[24:25], v[33:34], s[12:13], -v[24:25]
	s_mov_b32 s13, 0x3fe77f67
	v_fma_f64 v[20:21], v[45:46], s[8:9], -v[20:21]
	v_fma_f64 v[39:40], v[41:42], s[4:5], -v[39:40]
	v_fma_f64 v[14:15], v[18:19], s[0:1], v[37:38]
	v_fma_f64 v[18:19], v[49:50], s[8:9], -v[26:27]
	v_fma_f64 v[22:23], v[53:54], s[4:5], -v[22:23]
	s_mov_b32 s0, 0x37c3f68c
	s_mov_b32 s1, 0x3fdc38aa
	v_mad_u64_u32 v[45:46], null, s2, v30, 0
	v_fma_f64 v[41:42], v[47:48], s[10:11], v[2:3]
	v_fma_f64 v[10:11], v[33:34], s[12:13], -v[10:11]
	v_fma_f64 v[26:27], v[51:52], s[10:11], v[0:1]
	v_fma_f64 v[8:9], v[35:36], s[12:13], -v[8:9]
	v_fma_f64 v[12:13], v[4:5], s[0:1], v[12:13]
	v_fma_f64 v[35:36], v[6:7], s[0:1], v[43:44]
	;; [unrolled: 1-line block ×6, first 2 shown]
	v_mul_lo_u32 v6, s3, v30
	v_mul_lo_u32 v7, s2, v31
	s_delay_alu instid0(VALU_DEP_1) | instskip(NEXT) | instid1(VALU_DEP_1)
	v_add3_u32 v46, v46, v7, v6
	v_lshlrev_b64 v[30:31], 4, v[45:46]
	v_add_f64 v[16:17], v[16:17], v[41:42]
	v_add_f64 v[24:25], v[24:25], v[41:42]
	;; [unrolled: 1-line block ×6, first 2 shown]
	v_add_f64 v[26:27], v[16:17], -v[12:13]
	v_add_f64 v[10:11], v[4:5], v[24:25]
	v_add_f64 v[22:23], v[24:25], -v[4:5]
	v_add_f64 v[14:15], v[33:34], -v[20:21]
	v_add_f64 v[24:25], v[35:36], v[41:42]
	v_add_f64 v[18:19], v[20:21], v[33:34]
	;; [unrolled: 1-line block ×4, first 2 shown]
	v_add_f64 v[16:17], v[8:9], -v[37:38]
	v_add_f64 v[12:13], v[37:38], v[8:9]
	v_add_f64 v[8:9], v[43:44], -v[39:40]
	v_add_f64 v[4:5], v[41:42], -v[35:36]
	v_mov_b32_e32 v33, 0
	v_add_co_u32 v34, vcc_lo, s6, v30
	v_add_co_ci_u32_e32 v35, vcc_lo, s7, v31, vcc_lo
	s_delay_alu instid0(VALU_DEP_3) | instskip(NEXT) | instid1(VALU_DEP_3)
	v_lshlrev_b64 v[30:31], 4, v[32:33]
	v_add_co_u32 v28, vcc_lo, v34, v28
	s_delay_alu instid0(VALU_DEP_3) | instskip(NEXT) | instid1(VALU_DEP_2)
	v_add_co_ci_u32_e32 v29, vcc_lo, v35, v29, vcc_lo
	v_add_co_u32 v28, vcc_lo, v28, v30
	s_delay_alu instid0(VALU_DEP_2) | instskip(NEXT) | instid1(VALU_DEP_2)
	v_add_co_ci_u32_e32 v29, vcc_lo, v29, v31, vcc_lo
	v_add_co_u32 v30, vcc_lo, 0x1000, v28
	s_delay_alu instid0(VALU_DEP_2)
	v_add_co_ci_u32_e32 v31, vcc_lo, 0, v29, vcc_lo
	v_add_co_u32 v32, vcc_lo, 0x2000, v28
	v_add_co_ci_u32_e32 v33, vcc_lo, 0, v29, vcc_lo
	s_clause 0x6
	global_store_b128 v[28:29], v[0:3], off
	global_store_b128 v[28:29], v[24:27], off offset:1680
	global_store_b128 v[28:29], v[20:23], off offset:3360
	;; [unrolled: 1-line block ×6, first 2 shown]
	s_nop 0
	s_sendmsg sendmsg(MSG_DEALLOC_VGPRS)
	s_endpgm
	.section	.rodata,"a",@progbits
	.p2align	6, 0x0
	.amdhsa_kernel fft_rtc_fwd_len735_factors_7_3_5_7_wgs_147_tpt_147_dp_op_CI_CI_unitstride_sbrr_dirReg
		.amdhsa_group_segment_fixed_size 0
		.amdhsa_private_segment_fixed_size 0
		.amdhsa_kernarg_size 104
		.amdhsa_user_sgpr_count 15
		.amdhsa_user_sgpr_dispatch_ptr 0
		.amdhsa_user_sgpr_queue_ptr 0
		.amdhsa_user_sgpr_kernarg_segment_ptr 1
		.amdhsa_user_sgpr_dispatch_id 0
		.amdhsa_user_sgpr_private_segment_size 0
		.amdhsa_wavefront_size32 1
		.amdhsa_uses_dynamic_stack 0
		.amdhsa_enable_private_segment 0
		.amdhsa_system_sgpr_workgroup_id_x 1
		.amdhsa_system_sgpr_workgroup_id_y 0
		.amdhsa_system_sgpr_workgroup_id_z 0
		.amdhsa_system_sgpr_workgroup_info 0
		.amdhsa_system_vgpr_workitem_id 0
		.amdhsa_next_free_vgpr 69
		.amdhsa_next_free_sgpr 27
		.amdhsa_reserve_vcc 1
		.amdhsa_float_round_mode_32 0
		.amdhsa_float_round_mode_16_64 0
		.amdhsa_float_denorm_mode_32 3
		.amdhsa_float_denorm_mode_16_64 3
		.amdhsa_dx10_clamp 1
		.amdhsa_ieee_mode 1
		.amdhsa_fp16_overflow 0
		.amdhsa_workgroup_processor_mode 1
		.amdhsa_memory_ordered 1
		.amdhsa_forward_progress 0
		.amdhsa_shared_vgpr_count 0
		.amdhsa_exception_fp_ieee_invalid_op 0
		.amdhsa_exception_fp_denorm_src 0
		.amdhsa_exception_fp_ieee_div_zero 0
		.amdhsa_exception_fp_ieee_overflow 0
		.amdhsa_exception_fp_ieee_underflow 0
		.amdhsa_exception_fp_ieee_inexact 0
		.amdhsa_exception_int_div_zero 0
	.end_amdhsa_kernel
	.text
.Lfunc_end0:
	.size	fft_rtc_fwd_len735_factors_7_3_5_7_wgs_147_tpt_147_dp_op_CI_CI_unitstride_sbrr_dirReg, .Lfunc_end0-fft_rtc_fwd_len735_factors_7_3_5_7_wgs_147_tpt_147_dp_op_CI_CI_unitstride_sbrr_dirReg
                                        ; -- End function
	.section	.AMDGPU.csdata,"",@progbits
; Kernel info:
; codeLenInByte = 5824
; NumSgprs: 29
; NumVgprs: 69
; ScratchSize: 0
; MemoryBound: 1
; FloatMode: 240
; IeeeMode: 1
; LDSByteSize: 0 bytes/workgroup (compile time only)
; SGPRBlocks: 3
; VGPRBlocks: 8
; NumSGPRsForWavesPerEU: 29
; NumVGPRsForWavesPerEU: 69
; Occupancy: 15
; WaveLimiterHint : 1
; COMPUTE_PGM_RSRC2:SCRATCH_EN: 0
; COMPUTE_PGM_RSRC2:USER_SGPR: 15
; COMPUTE_PGM_RSRC2:TRAP_HANDLER: 0
; COMPUTE_PGM_RSRC2:TGID_X_EN: 1
; COMPUTE_PGM_RSRC2:TGID_Y_EN: 0
; COMPUTE_PGM_RSRC2:TGID_Z_EN: 0
; COMPUTE_PGM_RSRC2:TIDIG_COMP_CNT: 0
	.text
	.p2alignl 7, 3214868480
	.fill 96, 4, 3214868480
	.type	__hip_cuid_a77d8c0975612721,@object ; @__hip_cuid_a77d8c0975612721
	.section	.bss,"aw",@nobits
	.globl	__hip_cuid_a77d8c0975612721
__hip_cuid_a77d8c0975612721:
	.byte	0                               ; 0x0
	.size	__hip_cuid_a77d8c0975612721, 1

	.ident	"AMD clang version 19.0.0git (https://github.com/RadeonOpenCompute/llvm-project roc-6.4.0 25133 c7fe45cf4b819c5991fe208aaa96edf142730f1d)"
	.section	".note.GNU-stack","",@progbits
	.addrsig
	.addrsig_sym __hip_cuid_a77d8c0975612721
	.amdgpu_metadata
---
amdhsa.kernels:
  - .args:
      - .actual_access:  read_only
        .address_space:  global
        .offset:         0
        .size:           8
        .value_kind:     global_buffer
      - .offset:         8
        .size:           8
        .value_kind:     by_value
      - .actual_access:  read_only
        .address_space:  global
        .offset:         16
        .size:           8
        .value_kind:     global_buffer
      - .actual_access:  read_only
        .address_space:  global
        .offset:         24
        .size:           8
        .value_kind:     global_buffer
      - .actual_access:  read_only
        .address_space:  global
        .offset:         32
        .size:           8
        .value_kind:     global_buffer
      - .offset:         40
        .size:           8
        .value_kind:     by_value
      - .actual_access:  read_only
        .address_space:  global
        .offset:         48
        .size:           8
        .value_kind:     global_buffer
      - .actual_access:  read_only
        .address_space:  global
        .offset:         56
        .size:           8
        .value_kind:     global_buffer
      - .offset:         64
        .size:           4
        .value_kind:     by_value
      - .actual_access:  read_only
        .address_space:  global
        .offset:         72
        .size:           8
        .value_kind:     global_buffer
      - .actual_access:  read_only
        .address_space:  global
        .offset:         80
        .size:           8
        .value_kind:     global_buffer
      - .actual_access:  read_only
        .address_space:  global
        .offset:         88
        .size:           8
        .value_kind:     global_buffer
      - .actual_access:  write_only
        .address_space:  global
        .offset:         96
        .size:           8
        .value_kind:     global_buffer
    .group_segment_fixed_size: 0
    .kernarg_segment_align: 8
    .kernarg_segment_size: 104
    .language:       OpenCL C
    .language_version:
      - 2
      - 0
    .max_flat_workgroup_size: 147
    .name:           fft_rtc_fwd_len735_factors_7_3_5_7_wgs_147_tpt_147_dp_op_CI_CI_unitstride_sbrr_dirReg
    .private_segment_fixed_size: 0
    .sgpr_count:     29
    .sgpr_spill_count: 0
    .symbol:         fft_rtc_fwd_len735_factors_7_3_5_7_wgs_147_tpt_147_dp_op_CI_CI_unitstride_sbrr_dirReg.kd
    .uniform_work_group_size: 1
    .uses_dynamic_stack: false
    .vgpr_count:     69
    .vgpr_spill_count: 0
    .wavefront_size: 32
    .workgroup_processor_mode: 1
amdhsa.target:   amdgcn-amd-amdhsa--gfx1100
amdhsa.version:
  - 1
  - 2
...

	.end_amdgpu_metadata
